;; amdgpu-corpus repo=ROCm/rocFFT kind=compiled arch=gfx1201 opt=O3
	.text
	.amdgcn_target "amdgcn-amd-amdhsa--gfx1201"
	.amdhsa_code_object_version 6
	.protected	bluestein_single_back_len96_dim1_sp_op_CI_CI ; -- Begin function bluestein_single_back_len96_dim1_sp_op_CI_CI
	.globl	bluestein_single_back_len96_dim1_sp_op_CI_CI
	.p2align	8
	.type	bluestein_single_back_len96_dim1_sp_op_CI_CI,@function
bluestein_single_back_len96_dim1_sp_op_CI_CI: ; @bluestein_single_back_len96_dim1_sp_op_CI_CI
; %bb.0:
	s_load_b128 s[12:15], s[0:1], 0x28
	v_lshrrev_b32_e32 v1, 4, v0
	v_mov_b32_e32 v61, 0
	s_mov_b32 s2, exec_lo
	s_delay_alu instid0(VALU_DEP_2) | instskip(SKIP_1) | instid1(VALU_DEP_1)
	v_lshl_or_b32 v60, ttmp9, 3, v1
	s_wait_kmcnt 0x0
	v_cmpx_gt_u64_e64 s[12:13], v[60:61]
	s_cbranch_execz .LBB0_10
; %bb.1:
	s_clause 0x1
	s_load_b128 s[4:7], s[0:1], 0x18
	s_load_b128 s[8:11], s[0:1], 0x0
	v_mul_u32_u24_e32 v82, 0x60, v1
	s_load_b64 s[0:1], s[0:1], 0x38
                                        ; implicit-def: $vgpr42
                                        ; implicit-def: $vgpr46
                                        ; implicit-def: $vgpr50
                                        ; implicit-def: $vgpr54
                                        ; implicit-def: $vgpr58
	s_wait_kmcnt 0x0
	s_load_b128 s[16:19], s[4:5], 0x0
	s_wait_kmcnt 0x0
	v_mad_co_u64_u32 v[2:3], null, s18, v60, 0
	v_and_b32_e32 v77, 15, v0
	s_lshl_b64 s[2:3], s[16:17], 7
	s_delay_alu instid0(VALU_DEP_2) | instskip(NEXT) | instid1(VALU_DEP_2)
	v_mov_b32_e32 v0, v3
	v_mad_co_u64_u32 v[4:5], null, s16, v77, 0
	v_lshlrev_b32_e32 v80, 3, v77
	s_clause 0x3
	global_load_b64 v[61:62], v80, s[8:9]
	global_load_b64 v[63:64], v80, s[8:9] offset:128
	global_load_b64 v[67:68], v80, s[8:9] offset:256
	;; [unrolled: 1-line block ×3, first 2 shown]
	v_mov_b32_e32 v3, v5
	v_mad_co_u64_u32 v[5:6], null, s19, v60, v[0:1]
	v_or_b32_e32 v1, v82, v77
	v_lshl_or_b32 v78, v82, 3, v80
	s_delay_alu instid0(VALU_DEP_4) | instskip(NEXT) | instid1(VALU_DEP_4)
	v_mad_co_u64_u32 v[6:7], null, s17, v77, v[3:4]
	v_mov_b32_e32 v3, v5
	s_delay_alu instid0(VALU_DEP_2) | instskip(NEXT) | instid1(VALU_DEP_2)
	v_mov_b32_e32 v5, v6
	v_lshlrev_b64_e32 v[2:3], 3, v[2:3]
	s_delay_alu instid0(VALU_DEP_2) | instskip(NEXT) | instid1(VALU_DEP_2)
	v_lshlrev_b64_e32 v[4:5], 3, v[4:5]
	v_add_co_u32 v0, vcc_lo, s14, v2
	s_delay_alu instid0(VALU_DEP_3) | instskip(NEXT) | instid1(VALU_DEP_2)
	v_add_co_ci_u32_e32 v3, vcc_lo, s15, v3, vcc_lo
	v_add_co_u32 v2, vcc_lo, v0, v4
	s_wait_alu 0xfffd
	s_delay_alu instid0(VALU_DEP_2) | instskip(NEXT) | instid1(VALU_DEP_2)
	v_add_co_ci_u32_e32 v3, vcc_lo, v3, v5, vcc_lo
	v_add_co_u32 v4, vcc_lo, v2, s2
	s_wait_alu 0xfffd
	s_delay_alu instid0(VALU_DEP_2) | instskip(SKIP_4) | instid1(VALU_DEP_2)
	v_add_co_ci_u32_e32 v5, vcc_lo, s3, v3, vcc_lo
	global_load_b64 v[2:3], v[2:3], off
	v_add_co_u32 v6, vcc_lo, v4, s2
	s_wait_alu 0xfffd
	v_add_co_ci_u32_e32 v7, vcc_lo, s3, v5, vcc_lo
	v_add_co_u32 v8, vcc_lo, v6, s2
	s_wait_alu 0xfffd
	s_delay_alu instid0(VALU_DEP_2)
	v_add_co_ci_u32_e32 v9, vcc_lo, s3, v7, vcc_lo
	s_clause 0x1
	global_load_b64 v[4:5], v[4:5], off
	global_load_b64 v[6:7], v[6:7], off
	v_add_co_u32 v10, vcc_lo, v8, s2
	s_wait_alu 0xfffd
	v_add_co_ci_u32_e32 v11, vcc_lo, s3, v9, vcc_lo
	global_load_b64 v[8:9], v[8:9], off
	v_add_co_u32 v12, vcc_lo, v10, s2
	s_wait_alu 0xfffd
	v_add_co_ci_u32_e32 v13, vcc_lo, s3, v11, vcc_lo
	global_load_b64 v[10:11], v[10:11], off
	s_clause 0x1
	global_load_b64 v[69:70], v80, s[8:9] offset:512
	global_load_b64 v[71:72], v80, s[8:9] offset:640
	global_load_b64 v[12:13], v[12:13], off
	v_lshlrev_b32_e32 v79, 3, v1
	s_load_b128 s[4:7], s[6:7], 0x0
	v_add_co_u32 v75, s2, s8, v80
	v_cmp_gt_u32_e32 vcc_lo, 6, v77
	s_wait_alu 0xf1ff
	v_add_co_ci_u32_e64 v76, null, s9, 0, s2
	s_wait_loadcnt 0x7
	v_mul_f32_e32 v0, v3, v62
	v_mul_f32_e32 v14, v2, v62
	s_delay_alu instid0(VALU_DEP_2) | instskip(NEXT) | instid1(VALU_DEP_2)
	v_fmac_f32_e32 v0, v2, v61
	v_fma_f32 v1, v3, v61, -v14
	s_wait_loadcnt 0x6
	v_mul_f32_e32 v3, v4, v64
	v_mul_f32_e32 v2, v5, v64
	s_wait_loadcnt 0x5
	v_mul_f32_e32 v14, v7, v68
	v_mul_f32_e32 v15, v6, v68
	v_fma_f32 v3, v5, v63, -v3
	v_fmac_f32_e32 v2, v4, v63
	s_wait_loadcnt 0x4
	v_mul_f32_e32 v4, v9, v66
	v_dual_mul_f32 v5, v8, v66 :: v_dual_fmac_f32 v14, v6, v67
	v_fma_f32 v15, v7, v67, -v15
	s_wait_loadcnt 0x2
	v_mul_f32_e32 v6, v11, v70
	v_dual_fmac_f32 v4, v8, v65 :: v_dual_mul_f32 v7, v10, v70
	s_wait_loadcnt 0x0
	v_mul_f32_e32 v8, v13, v72
	v_mul_f32_e32 v16, v12, v72
	v_fma_f32 v5, v9, v65, -v5
	v_fmac_f32_e32 v6, v10, v69
	v_fma_f32 v7, v11, v69, -v7
	v_fmac_f32_e32 v8, v12, v71
	v_fma_f32 v9, v13, v71, -v16
	ds_store_2addr_b64 v79, v[0:1], v[2:3] offset1:16
	ds_store_2addr_b64 v78, v[14:15], v[4:5] offset0:32 offset1:48
	ds_store_2addr_b64 v78, v[6:7], v[8:9] offset0:64 offset1:80
	global_wb scope:SCOPE_SE
	s_wait_dscnt 0x0
	s_wait_kmcnt 0x0
	s_barrier_signal -1
	s_barrier_wait -1
	global_inv scope:SCOPE_SE
	ds_load_2addr_b64 v[0:3], v79 offset1:16
	ds_load_2addr_b64 v[4:7], v78 offset0:32 offset1:48
	ds_load_2addr_b64 v[8:11], v78 offset0:64 offset1:80
	v_mul_u32_u24_e32 v12, 6, v77
	global_wb scope:SCOPE_SE
	s_wait_dscnt 0x0
	s_barrier_signal -1
	s_barrier_wait -1
	global_inv scope:SCOPE_SE
	v_add_lshl_u32 v81, v82, v12, 3
	v_add_f32_e32 v15, v1, v5
	v_dual_add_f32 v13, v4, v8 :: v_dual_add_f32 v16, v2, v6
	v_sub_f32_e32 v14, v5, v9
	v_add_f32_e32 v5, v5, v9
	v_add_f32_e32 v17, v6, v10
	v_dual_add_f32 v19, v3, v7 :: v_dual_sub_f32 v6, v6, v10
	v_add_f32_e32 v9, v15, v9
	s_delay_alu instid0(VALU_DEP_4)
	v_fma_f32 v1, -0.5, v5, v1
	v_sub_f32_e32 v18, v7, v11
	v_dual_add_f32 v7, v7, v11 :: v_dual_add_f32 v12, v0, v4
	v_fma_f32 v0, -0.5, v13, v0
	v_add_f32_e32 v5, v16, v10
	v_sub_f32_e32 v4, v4, v8
	v_fma_f32 v2, -0.5, v17, v2
	v_add_f32_e32 v10, v19, v11
	v_fmac_f32_e32 v3, -0.5, v7
	v_fmamk_f32 v7, v14, 0x3f5db3d7, v0
	v_fmamk_f32 v11, v4, 0xbf5db3d7, v1
	v_dual_fmac_f32 v1, 0x3f5db3d7, v4 :: v_dual_fmamk_f32 v4, v18, 0x3f5db3d7, v2
	v_fmac_f32_e32 v2, 0xbf5db3d7, v18
	s_delay_alu instid0(VALU_DEP_1) | instskip(SKIP_2) | instid1(VALU_DEP_3)
	v_dual_add_f32 v8, v12, v8 :: v_dual_mul_f32 v13, -0.5, v2
	v_dual_fmamk_f32 v12, v6, 0xbf5db3d7, v3 :: v_dual_sub_f32 v35, v9, v10
	v_fmac_f32_e32 v3, 0x3f5db3d7, v6
	v_dual_add_f32 v29, v9, v10 :: v_dual_add_f32 v28, v8, v5
	s_delay_alu instid0(VALU_DEP_2) | instskip(SKIP_1) | instid1(VALU_DEP_1)
	v_fmac_f32_e32 v13, 0x3f5db3d7, v3
	v_dual_mul_f32 v15, -0.5, v3 :: v_dual_sub_f32 v34, v8, v5
	v_fmac_f32_e32 v15, 0xbf5db3d7, v2
	v_fmac_f32_e32 v0, 0xbf5db3d7, v14
	s_delay_alu instid0(VALU_DEP_2) | instskip(NEXT) | instid1(VALU_DEP_2)
	v_dual_mul_f32 v14, 0xbf5db3d7, v4 :: v_dual_add_f32 v33, v1, v15
	v_add_f32_e32 v32, v0, v13
	s_delay_alu instid0(VALU_DEP_2) | instskip(SKIP_2) | instid1(VALU_DEP_2)
	v_fmac_f32_e32 v14, 0.5, v12
	v_mul_f32_e32 v6, 0x3f5db3d7, v12
	v_dual_sub_f32 v38, v0, v13 :: v_dual_sub_f32 v39, v1, v15
	v_dual_add_f32 v31, v11, v14 :: v_dual_fmac_f32 v6, 0.5, v4
	v_sub_f32_e32 v37, v11, v14
	s_delay_alu instid0(VALU_DEP_2)
	v_add_f32_e32 v30, v7, v6
	v_sub_f32_e32 v36, v7, v6
	ds_store_b128 v81, v[28:31]
	ds_store_b128 v81, v[32:35] offset:16
	ds_store_b128 v81, v[36:39] offset:32
	global_wb scope:SCOPE_SE
	s_wait_dscnt 0x0
	s_barrier_signal -1
	s_barrier_wait -1
	global_inv scope:SCOPE_SE
	s_and_saveexec_b32 s2, vcc_lo
	s_cbranch_execz .LBB0_3
; %bb.2:
	ds_load_2addr_b64 v[28:31], v79 offset1:6
	ds_load_2addr_b64 v[32:35], v79 offset0:12 offset1:18
	ds_load_2addr_b64 v[36:39], v79 offset0:24 offset1:30
	ds_load_2addr_b64 v[56:59], v79 offset0:36 offset1:42
	ds_load_2addr_b64 v[52:55], v79 offset0:48 offset1:54
	ds_load_2addr_b64 v[48:51], v79 offset0:60 offset1:66
	ds_load_2addr_b64 v[44:47], v79 offset0:72 offset1:78
	ds_load_2addr_b64 v[40:43], v79 offset0:84 offset1:90
.LBB0_3:
	s_wait_alu 0xfffe
	s_or_b32 exec_lo, exec_lo, s2
	v_mul_lo_u16 v0, v77, 43
	s_delay_alu instid0(VALU_DEP_1) | instskip(NEXT) | instid1(VALU_DEP_1)
	v_lshrrev_b16 v0, 8, v0
	v_mul_lo_u16 v0, v0, 6
	s_delay_alu instid0(VALU_DEP_1) | instskip(NEXT) | instid1(VALU_DEP_1)
	v_sub_nc_u16 v0, v77, v0
	v_mul_lo_u16 v0, v0, 15
	s_delay_alu instid0(VALU_DEP_1) | instskip(NEXT) | instid1(VALU_DEP_1)
	v_and_b32_e32 v0, 0xff, v0
	v_lshlrev_b32_e32 v73, 3, v0
	s_clause 0x7
	global_load_b128 v[8:11], v73, s[10:11]
	global_load_b128 v[4:7], v73, s[10:11] offset:16
	global_load_b128 v[12:15], v73, s[10:11] offset:32
	;; [unrolled: 1-line block ×6, first 2 shown]
	global_load_b64 v[73:74], v73, s[10:11] offset:112
	s_wait_loadcnt_dscnt 0x707
	v_mul_f32_e32 v84, v30, v9
	s_wait_loadcnt_dscnt 0x606
	v_dual_mul_f32 v86, v32, v11 :: v_dual_mul_f32 v87, v35, v5
	s_wait_loadcnt_dscnt 0x505
	v_dual_mul_f32 v89, v37, v7 :: v_dual_mul_f32 v92, v38, v13
	v_dual_mul_f32 v90, v36, v7 :: v_dual_mul_f32 v91, v39, v13
	s_wait_loadcnt_dscnt 0x404
	v_dual_mul_f32 v93, v57, v15 :: v_dual_mul_f32 v96, v58, v1
	;; [unrolled: 3-line block ×3, first 2 shown]
	s_wait_loadcnt_dscnt 0x101
	v_dual_mul_f32 v105, v45, v19 :: v_dual_mul_f32 v108, v46, v25
	s_wait_loadcnt_dscnt 0x0
	v_dual_mul_f32 v109, v41, v27 :: v_dual_mul_f32 v112, v42, v74
	v_dual_mul_f32 v110, v40, v27 :: v_dual_mul_f32 v111, v43, v74
	v_mul_f32_e32 v83, v31, v9
	v_dual_mul_f32 v85, v33, v11 :: v_dual_mul_f32 v88, v34, v5
	v_dual_mul_f32 v106, v44, v19 :: v_dual_mul_f32 v107, v47, v25
	v_fma_f32 v44, v44, v18, -v105
	v_fmac_f32_e32 v90, v37, v6
	v_fma_f32 v37, v52, v2, -v97
	v_fmac_f32_e32 v86, v33, v10
	v_fma_f32 v33, v34, v4, -v87
	v_fma_f32 v34, v36, v6, -v89
	;; [unrolled: 1-line block ×3, first 2 shown]
	v_sub_f32_e32 v37, v28, v37
	v_fma_f32 v40, v40, v26, -v109
	v_fmac_f32_e32 v110, v41, v26
	v_fma_f32 v41, v42, v73, -v111
	v_fmac_f32_e32 v84, v31, v8
	v_fma_f32 v31, v56, v14, -v93
	v_dual_mul_f32 v98, v52, v3 :: v_dual_mul_f32 v99, v55, v21
	v_dual_mul_f32 v101, v49, v23 :: v_dual_mul_f32 v104, v50, v17
	;; [unrolled: 1-line block ×3, first 2 shown]
	v_fmac_f32_e32 v100, v55, v20
	v_sub_f32_e32 v40, v31, v40
	v_fma_f32 v32, v32, v10, -v85
	v_fma_f32 v30, v30, v8, -v83
	v_dual_sub_f32 v41, v36, v41 :: v_dual_fmac_f32 v94, v57, v14
	s_delay_alu instid0(VALU_DEP_4)
	v_fma_f32 v31, v31, 2.0, -v40
	v_fmac_f32_e32 v104, v51, v16
	v_dual_fmac_f32 v102, v49, v22 :: v_dual_sub_f32 v49, v84, v100
	v_fmac_f32_e32 v92, v39, v12
	v_fma_f32 v39, v48, v22, -v101
	v_fmac_f32_e32 v88, v35, v4
	v_fma_f32 v35, v38, v12, -v91
	v_fma_f32 v38, v54, v20, -v99
	;; [unrolled: 1-line block ×3, first 2 shown]
	v_dual_sub_f32 v39, v32, v39 :: v_dual_fmac_f32 v112, v43, v73
	v_sub_f32_e32 v43, v34, v44
	s_delay_alu instid0(VALU_DEP_4) | instskip(SKIP_1) | instid1(VALU_DEP_4)
	v_sub_f32_e32 v38, v30, v38
	v_fma_f32 v56, v84, 2.0, -v49
	v_fma_f32 v32, v32, 2.0, -v39
	;; [unrolled: 1-line block ×5, first 2 shown]
	v_dual_fmac_f32 v108, v47, v24 :: v_dual_sub_f32 v47, v94, v110
	v_fmac_f32_e32 v106, v45, v18
	v_fma_f32 v45, v46, v24, -v107
	v_dual_fmac_f32 v98, v53, v2 :: v_dual_sub_f32 v31, v32, v31
	v_sub_f32_e32 v51, v88, v104
	v_fma_f32 v55, v94, 2.0, -v47
	s_delay_alu instid0(VALU_DEP_4) | instskip(NEXT) | instid1(VALU_DEP_4)
	v_sub_f32_e32 v45, v35, v45
	v_dual_sub_f32 v47, v39, v47 :: v_dual_sub_f32 v42, v29, v98
	s_delay_alu instid0(VALU_DEP_4) | instskip(SKIP_1) | instid1(VALU_DEP_4)
	v_add_f32_e32 v41, v51, v41
	v_fmac_f32_e32 v96, v59, v0
	v_fma_f32 v35, v35, 2.0, -v45
	s_delay_alu instid0(VALU_DEP_4) | instskip(SKIP_2) | instid1(VALU_DEP_4)
	v_dual_sub_f32 v48, v33, v48 :: v_dual_add_f32 v43, v42, v43
	v_add_f32_e32 v85, v49, v45
	v_fma_f32 v32, v32, 2.0, -v31
	v_dual_sub_f32 v35, v30, v35 :: v_dual_sub_f32 v50, v92, v108
	v_fma_f32 v58, v88, 2.0, -v51
	v_fma_f32 v28, v28, 2.0, -v37
	;; [unrolled: 1-line block ×3, first 2 shown]
	s_delay_alu instid0(VALU_DEP_4) | instskip(SKIP_4) | instid1(VALU_DEP_3)
	v_fma_f32 v30, v30, 2.0, -v35
	v_fma_f32 v57, v92, 2.0, -v50
	v_sub_f32_e32 v44, v90, v106
	v_fma_f32 v42, v42, 2.0, -v43
	v_fma_f32 v39, v39, 2.0, -v47
	v_dual_sub_f32 v83, v37, v44 :: v_dual_sub_f32 v46, v86, v102
	s_delay_alu instid0(VALU_DEP_1) | instskip(NEXT) | instid1(VALU_DEP_2)
	v_dual_sub_f32 v52, v96, v112 :: v_dual_fmamk_f32 v87, v47, 0x3f3504f3, v83
	v_fma_f32 v54, v86, 2.0, -v46
	s_delay_alu instid0(VALU_DEP_2)
	v_fma_f32 v59, v96, 2.0, -v52
	v_sub_f32_e32 v45, v48, v52
	v_fma_f32 v86, v51, 2.0, -v41
	v_fma_f32 v37, v37, 2.0, -v83
	v_dual_sub_f32 v52, v54, v55 :: v_dual_sub_f32 v55, v56, v57
	v_fma_f32 v57, v49, 2.0, -v85
	v_sub_f32_e32 v49, v58, v59
	v_fma_f32 v53, v90, 2.0, -v44
	v_fmamk_f32 v90, v41, 0x3f3504f3, v85
	v_fma_f32 v56, v56, 2.0, -v55
	v_fmamk_f32 v93, v86, 0xbf3504f3, v57
	v_sub_f32_e32 v84, v38, v50
	s_delay_alu instid0(VALU_DEP_4) | instskip(NEXT) | instid1(VALU_DEP_2)
	v_fmac_f32_e32 v90, 0x3f3504f3, v45
	v_fmamk_f32 v89, v45, 0x3f3504f3, v84
	s_delay_alu instid0(VALU_DEP_1) | instskip(SKIP_3) | instid1(VALU_DEP_3)
	v_fmac_f32_e32 v89, 0xbf3504f3, v41
	v_fma_f32 v59, v48, 2.0, -v45
	v_add_f32_e32 v40, v46, v40
	v_fma_f32 v33, v33, 2.0, -v48
	v_fmac_f32_e32 v93, 0x3f3504f3, v59
	s_delay_alu instid0(VALU_DEP_3) | instskip(SKIP_3) | instid1(VALU_DEP_4)
	v_fmamk_f32 v88, v40, 0x3f3504f3, v43
	v_fmac_f32_e32 v87, 0xbf3504f3, v40
	v_fma_f32 v38, v38, 2.0, -v84
	v_sub_f32_e32 v94, v35, v49
	v_fmac_f32_e32 v88, 0x3f3504f3, v47
	v_sub_f32_e32 v34, v28, v34
	v_sub_f32_e32 v50, v29, v53
	v_fma_f32 v53, v46, 2.0, -v40
	v_fmamk_f32 v40, v59, 0xbf3504f3, v38
	v_fmamk_f32 v59, v90, 0x3f6c835e, v88
	v_fma_f32 v28, v28, 2.0, -v34
	v_fma_f32 v51, v43, 2.0, -v88
	v_fmamk_f32 v46, v53, 0xbf3504f3, v42
	v_fmac_f32_e32 v40, 0xbf3504f3, v86
	v_fma_f32 v86, v57, 2.0, -v93
	v_sub_f32_e32 v45, v28, v32
	v_sub_f32_e32 v91, v34, v52
	v_add_f32_e32 v92, v50, v31
	v_fma_f32 v48, v54, 2.0, -v52
	v_fma_f32 v54, v58, 2.0, -v49
	;; [unrolled: 1-line block ×3, first 2 shown]
	v_fmac_f32_e32 v46, 0x3f3504f3, v39
	v_fma_f32 v49, v50, 2.0, -v92
	v_dual_sub_f32 v36, v33, v36 :: v_dual_fmac_f32 v59, 0x3ec3ef15, v89
	v_fma_f32 v50, v83, 2.0, -v87
	v_fma_f32 v83, v84, 2.0, -v89
	v_sub_f32_e32 v32, v56, v54
	s_delay_alu instid0(VALU_DEP_4)
	v_fma_f32 v33, v33, 2.0, -v36
	v_add_f32_e32 v36, v55, v36
	v_fma_f32 v84, v85, 2.0, -v90
	v_fma_f32 v52, v28, 2.0, -v45
	;; [unrolled: 1-line block ×3, first 2 shown]
	v_sub_f32_e32 v31, v30, v33
	v_fma_f32 v43, v55, 2.0, -v36
	v_fma_f32 v55, v42, 2.0, -v46
	v_sub_f32_e32 v48, v29, v48
	v_fmamk_f32 v44, v39, 0xbf3504f3, v37
	v_fmamk_f32 v58, v89, 0x3f6c835e, v87
	v_fma_f32 v42, v56, 2.0, -v32
	v_fma_f32 v85, v38, 2.0, -v40
	v_fmamk_f32 v33, v93, 0x3ec3ef15, v46
	v_fmac_f32_e32 v44, 0xbf3504f3, v53
	v_fma_f32 v41, v35, 2.0, -v94
	v_fmamk_f32 v34, v94, 0x3f3504f3, v91
	v_fmamk_f32 v39, v43, 0xbf3504f3, v49
	;; [unrolled: 1-line block ×3, first 2 shown]
	v_fma_f32 v54, v37, 2.0, -v44
	v_fma_f32 v37, v30, 2.0, -v31
	v_fmamk_f32 v38, v41, 0xbf3504f3, v47
	v_fmac_f32_e32 v34, 0xbf3504f3, v36
	v_fmac_f32_e32 v58, 0xbec3ef15, v90
	;; [unrolled: 1-line block ×3, first 2 shown]
	v_dual_sub_f32 v56, v52, v37 :: v_dual_fmac_f32 v33, 0x3f6c835e, v40
	v_fmamk_f32 v37, v86, 0xbf6c835e, v55
	v_fma_f32 v53, v29, 2.0, -v48
	v_fmamk_f32 v29, v84, 0xbec3ef15, v51
	v_fmamk_f32 v35, v36, 0x3f3504f3, v92
	v_dual_fmamk_f32 v36, v85, 0xbf6c835e, v54 :: v_dual_add_f32 v31, v48, v31
	s_delay_alu instid0(VALU_DEP_4) | instskip(NEXT) | instid1(VALU_DEP_4)
	v_sub_f32_e32 v57, v53, v42
	v_dual_fmac_f32 v29, 0x3f6c835e, v83 :: v_dual_sub_f32 v30, v45, v32
	v_dual_fmac_f32 v37, 0x3ec3ef15, v85 :: v_dual_fmamk_f32 v32, v40, 0x3ec3ef15, v44
	v_fmac_f32_e32 v35, 0x3f3504f3, v94
	v_fmac_f32_e32 v38, 0xbf3504f3, v43
	;; [unrolled: 1-line block ×3, first 2 shown]
	v_fma_f32 v40, v91, 2.0, -v34
	v_fmac_f32_e32 v32, 0xbf6c835e, v93
	v_fma_f32 v41, v92, 2.0, -v35
	v_fma_f32 v42, v87, 2.0, -v58
	v_fmac_f32_e32 v36, 0xbec3ef15, v86
	v_fma_f32 v43, v88, 2.0, -v59
	s_and_saveexec_b32 s2, vcc_lo
	s_cbranch_execz .LBB0_5
; %bb.4:
	v_fma_f32 v55, v55, 2.0, -v37
	v_fma_f32 v54, v54, 2.0, -v36
	;; [unrolled: 1-line block ×12, first 2 shown]
	ds_store_2addr_b64 v79, v[52:53], v[54:55] offset1:6
	ds_store_2addr_b64 v79, v[83:84], v[50:51] offset0:12 offset1:18
	ds_store_b64 v79, v[47:48] offset:192
	ds_store_2addr_b64 v78, v[45:46], v[40:41] offset0:30 offset1:36
	ds_store_2addr_b64 v78, v[42:43], v[56:57] offset0:42 offset1:48
	;; [unrolled: 1-line block ×5, first 2 shown]
	ds_store_b64 v78, v[58:59] offset:720
.LBB0_5:
	s_wait_alu 0xfffe
	s_or_b32 exec_lo, exec_lo, s2
	s_add_nc_u64 s[2:3], s[8:9], 0x300
	global_wb scope:SCOPE_SE
	s_wait_dscnt 0x0
	s_barrier_signal -1
	s_barrier_wait -1
	global_inv scope:SCOPE_SE
	s_clause 0x5
	global_load_b64 v[48:49], v[75:76], off offset:768
	global_load_b64 v[50:51], v80, s[2:3] offset:128
	global_load_b64 v[52:53], v80, s[2:3] offset:256
	;; [unrolled: 1-line block ×5, first 2 shown]
	ds_load_2addr_b64 v[44:47], v79 offset1:16
	s_wait_loadcnt_dscnt 0x400
	v_dual_mul_f32 v75, v45, v49 :: v_dual_mul_f32 v76, v47, v51
	v_dual_mul_f32 v88, v44, v49 :: v_dual_mul_f32 v49, v46, v51
	s_delay_alu instid0(VALU_DEP_2) | instskip(SKIP_1) | instid1(VALU_DEP_3)
	v_fma_f32 v87, v44, v48, -v75
	v_lshl_add_u32 v75, v82, 3, v80
	v_dual_fmac_f32 v88, v45, v48 :: v_dual_fmac_f32 v49, v47, v50
	v_fma_f32 v48, v46, v50, -v76
	ds_store_2addr_b64 v79, v[87:88], v[48:49] offset1:16
	ds_load_2addr_b64 v[44:47], v78 offset0:32 offset1:64
	ds_load_b64 v[48:49], v75 offset:384
	ds_load_b64 v[50:51], v78 offset:640
	s_wait_loadcnt_dscnt 0x302
	v_mul_f32_e32 v76, v45, v53
	s_wait_loadcnt_dscnt 0x201
	v_dual_mul_f32 v87, v44, v53 :: v_dual_mul_f32 v80, v49, v55
	s_wait_loadcnt 0x1
	v_dual_mul_f32 v53, v48, v55 :: v_dual_mul_f32 v82, v47, v84
	s_wait_loadcnt_dscnt 0x0
	v_dual_mul_f32 v55, v46, v84 :: v_dual_mul_f32 v88, v51, v86
	v_dual_mul_f32 v84, v50, v86 :: v_dual_fmac_f32 v87, v45, v52
	v_fma_f32 v86, v44, v52, -v76
	v_fma_f32 v52, v48, v54, -v80
	v_fmac_f32_e32 v53, v49, v54
	v_fma_f32 v54, v46, v83, -v82
	v_fmac_f32_e32 v55, v47, v83
	;; [unrolled: 2-line block ×3, first 2 shown]
	ds_store_2addr_b64 v78, v[86:87], v[54:55] offset0:32 offset1:64
	ds_store_b64 v75, v[52:53] offset:384
	ds_store_b64 v78, v[83:84] offset:640
	global_wb scope:SCOPE_SE
	s_wait_dscnt 0x0
	s_barrier_signal -1
	s_barrier_wait -1
	global_inv scope:SCOPE_SE
	ds_load_2addr_b64 v[44:47], v79 offset1:16
	ds_load_2addr_b64 v[48:51], v78 offset0:32 offset1:64
	ds_load_b64 v[52:53], v75 offset:384
	ds_load_b64 v[54:55], v78 offset:640
	global_wb scope:SCOPE_SE
	s_wait_dscnt 0x0
	s_barrier_signal -1
	s_barrier_wait -1
	global_inv scope:SCOPE_SE
	v_add_f32_e32 v76, v44, v48
	v_dual_add_f32 v80, v48, v50 :: v_dual_add_f32 v83, v45, v49
	v_dual_sub_f32 v48, v48, v50 :: v_dual_add_f32 v87, v47, v53
	v_add_f32_e32 v84, v46, v52
	v_sub_f32_e32 v86, v53, v55
	v_add_f32_e32 v53, v53, v55
	v_dual_sub_f32 v82, v49, v51 :: v_dual_add_f32 v85, v52, v54
	v_dual_add_f32 v49, v49, v51 :: v_dual_sub_f32 v52, v52, v54
	v_dual_add_f32 v51, v83, v51 :: v_dual_add_f32 v50, v76, v50
	v_add_f32_e32 v55, v87, v55
	v_fma_f32 v76, -0.5, v80, v44
	v_fmac_f32_e32 v47, -0.5, v53
	v_fma_f32 v80, -0.5, v49, v45
	v_add_f32_e32 v49, v84, v54
	v_fma_f32 v46, -0.5, v85, v46
	v_fmamk_f32 v83, v82, 0xbf5db3d7, v76
	v_dual_fmac_f32 v76, 0x3f5db3d7, v82 :: v_dual_fmamk_f32 v53, v52, 0x3f5db3d7, v47
	s_delay_alu instid0(VALU_DEP_4) | instskip(SKIP_1) | instid1(VALU_DEP_2)
	v_dual_fmac_f32 v47, 0xbf5db3d7, v52 :: v_dual_add_f32 v44, v50, v49
	v_dual_fmamk_f32 v82, v48, 0x3f5db3d7, v80 :: v_dual_add_f32 v45, v51, v55
	v_dual_fmac_f32 v80, 0xbf5db3d7, v48 :: v_dual_mul_f32 v85, 0xbf5db3d7, v47
	v_dual_fmamk_f32 v48, v86, 0xbf5db3d7, v46 :: v_dual_mul_f32 v87, -0.5, v47
	v_fmac_f32_e32 v46, 0x3f5db3d7, v86
	v_mul_f32_e32 v84, 0xbf5db3d7, v53
	v_mul_f32_e32 v86, 0.5, v53
	v_dual_sub_f32 v54, v50, v49 :: v_dual_sub_f32 v55, v51, v55
	s_delay_alu instid0(VALU_DEP_3) | instskip(NEXT) | instid1(VALU_DEP_3)
	v_dual_fmac_f32 v87, 0x3f5db3d7, v46 :: v_dual_fmac_f32 v84, 0.5, v48
	v_dual_fmac_f32 v85, -0.5, v46 :: v_dual_fmac_f32 v86, 0x3f5db3d7, v48
	s_delay_alu instid0(VALU_DEP_2) | instskip(NEXT) | instid1(VALU_DEP_2)
	v_dual_add_f32 v53, v80, v87 :: v_dual_add_f32 v46, v83, v84
	v_dual_add_f32 v52, v76, v85 :: v_dual_sub_f32 v49, v82, v86
	v_dual_add_f32 v47, v82, v86 :: v_dual_sub_f32 v48, v83, v84
	v_sub_f32_e32 v51, v80, v87
	v_sub_f32_e32 v50, v76, v85
	ds_store_b128 v81, v[44:47]
	ds_store_b128 v81, v[52:55] offset:16
	ds_store_b128 v81, v[48:51] offset:32
	global_wb scope:SCOPE_SE
	s_wait_dscnt 0x0
	s_barrier_signal -1
	s_barrier_wait -1
	global_inv scope:SCOPE_SE
	s_and_saveexec_b32 s2, vcc_lo
	s_cbranch_execz .LBB0_7
; %bb.6:
	ds_load_2addr_b64 v[44:47], v79 offset1:6
	ds_load_2addr_b64 v[52:55], v79 offset0:12 offset1:18
	ds_load_2addr_b64 v[48:51], v79 offset0:24 offset1:30
	;; [unrolled: 1-line block ×6, first 2 shown]
	ds_load_b64 v[56:57], v75 offset:384
	ds_load_b64 v[58:59], v79 offset:720
.LBB0_7:
	s_wait_alu 0xfffe
	s_or_b32 exec_lo, exec_lo, s2
	s_and_saveexec_b32 s2, vcc_lo
	s_cbranch_execz .LBB0_9
; %bb.8:
	s_wait_dscnt 0x6
	v_mul_f32_e32 v84, v7, v49
	s_wait_dscnt 0x3
	s_delay_alu instid0(VALU_DEP_1) | instskip(NEXT) | instid1(VALU_DEP_1)
	v_dual_mul_f32 v85, v19, v31 :: v_dual_fmac_f32 v84, v6, v48
	v_dual_mul_f32 v76, v11, v52 :: v_dual_fmac_f32 v85, v18, v30
	s_wait_dscnt 0x2
	v_mul_f32_e32 v82, v27, v35
	v_mul_f32_e32 v11, v11, v53
	s_delay_alu instid0(VALU_DEP_3) | instskip(SKIP_1) | instid1(VALU_DEP_4)
	v_fma_f32 v76, v10, v53, -v76
	v_sub_f32_e32 v85, v84, v85
	v_dual_mul_f32 v81, v15, v41 :: v_dual_fmac_f32 v82, v26, v34
	v_mul_f32_e32 v80, v23, v38
	v_mul_f32_e32 v23, v23, v39
	v_fmac_f32_e32 v11, v10, v52
	s_delay_alu instid0(VALU_DEP_4)
	v_fmac_f32_e32 v81, v14, v40
	s_wait_dscnt 0x1
	v_mul_f32_e32 v83, v3, v56
	v_fma_f32 v80, v22, v39, -v80
	v_dual_fmac_f32 v23, v22, v38 :: v_dual_mul_f32 v38, v21, v36
	v_sub_f32_e32 v82, v81, v82
	s_delay_alu instid0(VALU_DEP_4)
	v_fma_f32 v83, v2, v57, -v83
	v_mul_f32_e32 v10, v5, v54
	v_mul_f32_e32 v22, v17, v28
	;; [unrolled: 1-line block ×3, first 2 shown]
	v_fma_f32 v38, v20, v37, -v38
	v_dual_sub_f32 v83, v45, v83 :: v_dual_sub_f32 v80, v76, v80
	v_mul_f32_e32 v15, v15, v40
	v_fma_f32 v10, v4, v55, -v10
	v_fma_f32 v22, v16, v29, -v22
	s_delay_alu instid0(VALU_DEP_4)
	v_dual_sub_f32 v87, v83, v85 :: v_dual_sub_f32 v86, v80, v82
	v_mul_f32_e32 v27, v27, v34
	v_fma_f32 v14, v14, v41, -v15
	v_dual_mul_f32 v40, v25, v33 :: v_dual_fmac_f32 v5, v4, v54
	v_mul_f32_e32 v4, v17, v29
	v_fmamk_f32 v34, v86, 0x3f3504f3, v87
	v_fma_f32 v15, v26, v35, -v27
	v_mul_f32_e32 v26, v1, v43
	v_sub_f32_e32 v23, v11, v23
	s_wait_dscnt 0x0
	v_dual_mul_f32 v27, v74, v59 :: v_dual_fmac_f32 v40, v24, v32
	s_delay_alu instid0(VALU_DEP_3) | instskip(SKIP_1) | instid1(VALU_DEP_3)
	v_dual_sub_f32 v15, v14, v15 :: v_dual_fmac_f32 v26, v0, v42
	v_dual_mul_f32 v39, v13, v51 :: v_dual_sub_f32 v22, v10, v22
	v_dual_fmac_f32 v27, v73, v58 :: v_dual_fmac_f32 v4, v16, v28
	v_mul_f32_e32 v17, v25, v32
	v_fma_f32 v25, v11, 2.0, -v23
	v_mul_f32_e32 v3, v3, v57
	s_delay_alu instid0(VALU_DEP_4)
	v_sub_f32_e32 v27, v26, v27
	v_fmac_f32_e32 v39, v12, v50
	v_add_f32_e32 v41, v15, v23
	v_mul_f32_e32 v13, v13, v50
	v_fmac_f32_e32 v3, v2, v56
	v_dual_sub_f32 v52, v22, v27 :: v_dual_mul_f32 v35, v9, v46
	v_dual_sub_f32 v40, v39, v40 :: v_dual_mul_f32 v9, v9, v47
	v_mul_f32_e32 v21, v21, v37
	v_fma_f32 v12, v12, v51, -v13
	s_delay_alu instid0(VALU_DEP_4) | instskip(SKIP_2) | instid1(VALU_DEP_3)
	v_fma_f32 v35, v8, v47, -v35
	v_fma_f32 v13, v24, v33, -v17
	v_dual_fmac_f32 v9, v8, v46 :: v_dual_sub_f32 v4, v5, v4
	v_dual_fmac_f32 v21, v20, v36 :: v_dual_sub_f32 v38, v35, v38
	s_delay_alu instid0(VALU_DEP_3) | instskip(SKIP_1) | instid1(VALU_DEP_4)
	v_sub_f32_e32 v13, v12, v13
	v_fma_f32 v24, v45, 2.0, -v83
	v_fma_f32 v11, v5, 2.0, -v4
	s_delay_alu instid0(VALU_DEP_4)
	v_sub_f32_e32 v17, v9, v21
	v_sub_f32_e32 v53, v38, v40
	v_fma_f32 v5, v26, 2.0, -v27
	v_fma_f32 v28, v35, 2.0, -v38
	;; [unrolled: 1-line block ×3, first 2 shown]
	v_add_f32_e32 v20, v13, v17
	v_dual_mul_f32 v1, v1, v42 :: v_dual_fmamk_f32 v16, v52, 0x3f3504f3, v53
	v_mul_f32_e32 v42, v74, v58
	v_fmac_f32_e32 v34, 0xbf3504f3, v41
	v_fma_f32 v10, v10, 2.0, -v22
	s_delay_alu instid0(VALU_DEP_4) | instskip(SKIP_3) | instid1(VALU_DEP_2)
	v_fma_f32 v0, v0, v43, -v1
	v_fma_f32 v37, v38, 2.0, -v53
	v_fma_f32 v1, v73, v59, -v42
	v_fma_f32 v22, v22, 2.0, -v52
	v_dual_sub_f32 v8, v0, v1 :: v_dual_mul_f32 v1, v7, v48
	v_mul_f32_e32 v7, v19, v30
	s_delay_alu instid0(VALU_DEP_2) | instskip(NEXT) | instid1(VALU_DEP_3)
	v_add_f32_e32 v19, v8, v4
	v_fma_f32 v6, v6, v49, -v1
	s_delay_alu instid0(VALU_DEP_3) | instskip(NEXT) | instid1(VALU_DEP_1)
	v_fma_f32 v1, v18, v31, -v7
	v_dual_sub_f32 v18, v44, v3 :: v_dual_sub_f32 v7, v6, v1
	s_delay_alu instid0(VALU_DEP_1) | instskip(SKIP_1) | instid1(VALU_DEP_3)
	v_fma_f32 v3, v6, 2.0, -v7
	v_fma_f32 v6, v81, 2.0, -v82
	v_add_f32_e32 v21, v7, v18
	s_delay_alu instid0(VALU_DEP_2)
	v_sub_f32_e32 v26, v25, v6
	v_sub_f32_e32 v6, v11, v5
	v_fmamk_f32 v2, v19, 0x3f3504f3, v20
	v_fmac_f32_e32 v16, 0xbf3504f3, v19
	v_fma_f32 v5, v39, 2.0, -v40
	v_fma_f32 v4, v4, 2.0, -v19
	s_delay_alu instid0(VALU_DEP_4)
	v_fmac_f32_e32 v2, 0x3f3504f3, v52
	v_fma_f32 v7, v12, 2.0, -v13
	v_sub_f32_e32 v12, v24, v3
	v_fma_f32 v3, v0, 2.0, -v8
	v_fma_f32 v8, v9, 2.0, -v17
	;; [unrolled: 1-line block ×3, first 2 shown]
	v_sub_f32_e32 v27, v28, v7
	v_fma_f32 v7, v14, 2.0, -v15
	v_fma_f32 v14, v44, 2.0, -v18
	;; [unrolled: 1-line block ×3, first 2 shown]
	v_fmamk_f32 v1, v16, 0x3f6c835e, v34
	v_fma_f32 v15, v80, 2.0, -v86
	v_sub_f32_e32 v38, v9, v7
	v_fma_f32 v7, v23, 2.0, -v41
	v_sub_f32_e32 v39, v14, v13
	s_delay_alu instid0(VALU_DEP_4) | instskip(SKIP_2) | instid1(VALU_DEP_4)
	v_dual_fmamk_f32 v23, v22, 0xbf3504f3, v37 :: v_dual_fmamk_f32 v40, v15, 0xbf3504f3, v36
	v_sub_f32_e32 v29, v12, v26
	v_sub_f32_e32 v30, v27, v6
	v_add_f32_e32 v42, v38, v39
	v_fmamk_f32 v32, v41, 0x3f3504f3, v21
	v_dual_fmac_f32 v40, 0xbf3504f3, v7 :: v_dual_sub_f32 v33, v8, v5
	v_fma_f32 v41, v17, 2.0, -v20
	v_fma_f32 v18, v18, 2.0, -v21
	s_delay_alu instid0(VALU_DEP_4) | instskip(SKIP_1) | instid1(VALU_DEP_3)
	v_dual_sub_f32 v31, v10, v3 :: v_dual_fmac_f32 v32, 0x3f3504f3, v86
	v_fma_f32 v9, v9, 2.0, -v38
	v_dual_fmamk_f32 v43, v4, 0xbf3504f3, v41 :: v_dual_fmamk_f32 v44, v7, 0xbf3504f3, v18
	s_delay_alu instid0(VALU_DEP_3) | instskip(SKIP_1) | instid1(VALU_DEP_3)
	v_dual_add_f32 v35, v31, v33 :: v_dual_fmamk_f32 v0, v2, 0x3f6c835e, v32
	v_fmamk_f32 v5, v30, 0x3f3504f3, v29
	v_dual_fmac_f32 v43, 0x3f3504f3, v22 :: v_dual_fmac_f32 v44, 0x3f3504f3, v15
	v_fma_f32 v10, v10, 2.0, -v31
	v_fmac_f32_e32 v23, 0xbf3504f3, v4
	v_fmamk_f32 v4, v35, 0x3f3504f3, v42
	v_fma_f32 v38, v8, 2.0, -v33
	v_fma_f32 v8, v11, 2.0, -v6
	v_fmac_f32_e32 v1, 0xbec3ef15, v2
	v_fmac_f32_e32 v0, 0x3ec3ef15, v16
	v_fma_f32 v22, v24, 2.0, -v12
	v_fmamk_f32 v6, v43, 0x3ec3ef15, v44
	v_sub_f32_e32 v46, v38, v8
	v_fma_f32 v3, v34, 2.0, -v1
	v_fma_f32 v24, v87, 2.0, -v34
	;; [unrolled: 1-line block ×7, first 2 shown]
	v_fmamk_f32 v15, v16, 0xbec3ef15, v24
	v_fma_f32 v20, v21, 2.0, -v32
	v_fmac_f32_e32 v4, 0x3f3504f3, v30
	v_sub_f32_e32 v10, v26, v10
	v_dual_sub_f32 v45, v22, v9 :: v_dual_fmac_f32 v6, 0x3f6c835e, v23
	v_fma_f32 v25, v12, 2.0, -v29
	v_fma_f32 v28, v27, 2.0, -v30
	v_sub_f32_e32 v47, v34, v14
	s_delay_alu instid0(VALU_DEP_4)
	v_dual_sub_f32 v13, v45, v46 :: v_dual_fmamk_f32 v14, v2, 0xbec3ef15, v20
	v_fmac_f32_e32 v15, 0xbf6c835e, v2
	v_fma_f32 v2, v33, 2.0, -v35
	v_fma_f32 v33, v39, 2.0, -v42
	v_fmac_f32_e32 v5, 0xbf3504f3, v35
	v_fmamk_f32 v17, v28, 0xbf3504f3, v25
	v_fmac_f32_e32 v14, 0x3f6c835e, v16
	v_fmamk_f32 v7, v23, 0x3ec3ef15, v40
	v_fmamk_f32 v16, v2, 0xbf3504f3, v33
	v_fma_f32 v9, v29, 2.0, -v5
	v_fmac_f32_e32 v17, 0xbf3504f3, v2
	v_fma_f32 v29, v36, 2.0, -v40
	v_fma_f32 v27, v37, 2.0, -v23
	;; [unrolled: 1-line block ×3, first 2 shown]
	v_fmac_f32_e32 v16, 0x3f3504f3, v28
	v_fma_f32 v30, v41, 2.0, -v43
	v_dual_fmac_f32 v7, 0xbf6c835e, v43 :: v_dual_add_f32 v12, v47, v10
	v_fma_f32 v21, v24, 2.0, -v15
	v_fma_f32 v23, v25, 2.0, -v17
	s_delay_alu instid0(VALU_DEP_4)
	v_dual_fmamk_f32 v24, v30, 0xbf6c835e, v18 :: v_dual_fmamk_f32 v25, v27, 0xbf6c835e, v29
	v_fma_f32 v22, v22, 2.0, -v45
	v_fma_f32 v10, v26, 2.0, -v10
	;; [unrolled: 1-line block ×4, first 2 shown]
	v_fmac_f32_e32 v25, 0xbec3ef15, v30
	s_delay_alu instid0(VALU_DEP_4) | instskip(SKIP_1) | instid1(VALU_DEP_4)
	v_dual_fmac_f32 v24, 0x3ec3ef15, v27 :: v_dual_sub_f32 v27, v22, v10
	v_fma_f32 v20, v20, 2.0, -v14
	v_sub_f32_e32 v26, v34, v26
	s_delay_alu instid0(VALU_DEP_4) | instskip(NEXT) | instid1(VALU_DEP_4)
	v_fma_f32 v29, v29, 2.0, -v25
	v_fma_f32 v28, v18, 2.0, -v24
	;; [unrolled: 1-line block ×11, first 2 shown]
	ds_store_2addr_b64 v79, v[30:31], v[28:29] offset1:6
	ds_store_2addr_b64 v79, v[22:23], v[20:21] offset0:12 offset1:18
	ds_store_b64 v79, v[18:19] offset:192
	ds_store_2addr_b64 v78, v[10:11], v[8:9] offset0:30 offset1:36
	ds_store_b64 v78, v[2:3] offset:336
	ds_store_b64 v75, v[26:27] offset:384
	ds_store_2addr_b64 v78, v[24:25], v[16:17] offset0:54 offset1:60
	ds_store_2addr_b64 v78, v[14:15], v[12:13] offset0:66 offset1:72
	;; [unrolled: 1-line block ×3, first 2 shown]
	ds_store_b64 v78, v[0:1] offset:720
.LBB0_9:
	s_wait_alu 0xfffe
	s_or_b32 exec_lo, exec_lo, s2
	global_wb scope:SCOPE_SE
	s_wait_dscnt 0x0
	s_barrier_signal -1
	s_barrier_wait -1
	global_inv scope:SCOPE_SE
	ds_load_2addr_b64 v[0:3], v79 offset1:16
	ds_load_2addr_b64 v[4:7], v78 offset0:32 offset1:64
	ds_load_b64 v[8:9], v75 offset:384
	ds_load_b64 v[10:11], v78 offset:640
	v_mad_co_u64_u32 v[24:25], null, s6, v60, 0
	v_mad_co_u64_u32 v[26:27], null, s4, v77, 0
	s_mov_b32 s2, 0x55555555
	s_mov_b32 s3, 0x3f855555
	s_delay_alu instid0(VALU_DEP_1)
	v_mad_co_u64_u32 v[28:29], null, s7, v60, v[25:26]
	s_wait_dscnt 0x3
	v_dual_mul_f32 v12, v62, v1 :: v_dual_mul_f32 v15, v64, v2
	s_wait_dscnt 0x1
	v_dual_mul_f32 v17, v68, v4 :: v_dual_mul_f32 v18, v66, v9
	v_dual_mul_f32 v13, v62, v0 :: v_dual_mul_f32 v14, v64, v3
	;; [unrolled: 1-line block ×3, first 2 shown]
	s_wait_dscnt 0x0
	v_dual_mul_f32 v20, v66, v8 :: v_dual_mul_f32 v23, v72, v10
	v_mad_co_u64_u32 v[29:30], null, s5, v77, v[27:28]
	v_fmac_f32_e32 v18, v65, v8
	v_mul_f32_e32 v8, v70, v6
	v_dual_fmac_f32 v12, v61, v0 :: v_dual_mov_b32 v25, v28
	v_fma_f32 v13, v61, v1, -v13
	v_mul_f32_e32 v22, v72, v11
	v_dual_fmac_f32 v14, v63, v2 :: v_dual_mov_b32 v27, v29
	v_fma_f32 v15, v63, v3, -v15
	v_dual_fmac_f32 v16, v67, v4 :: v_dual_fmac_f32 v21, v69, v6
	v_fma_f32 v17, v67, v5, -v17
	v_fma_f32 v9, v65, v9, -v20
	;; [unrolled: 1-line block ×3, first 2 shown]
	v_cvt_f64_f32_e32 v[0:1], v12
	v_cvt_f64_f32_e32 v[2:3], v13
	v_fmac_f32_e32 v22, v71, v10
	v_fma_f32 v23, v71, v11, -v23
	v_cvt_f64_f32_e32 v[4:5], v14
	v_cvt_f64_f32_e32 v[12:13], v15
	;; [unrolled: 1-line block ×10, first 2 shown]
	v_lshlrev_b64_e32 v[24:25], 3, v[24:25]
	v_lshlrev_b64_e32 v[26:27], 3, v[26:27]
	s_wait_alu 0xfffe
	v_mul_f64_e32 v[0:1], s[2:3], v[0:1]
	v_mul_f64_e32 v[2:3], s[2:3], v[2:3]
	;; [unrolled: 1-line block ×12, first 2 shown]
	v_cvt_f32_f64_e32 v0, v[0:1]
	v_cvt_f32_f64_e32 v1, v[2:3]
	;; [unrolled: 1-line block ×12, first 2 shown]
	v_add_co_u32 v10, vcc_lo, s0, v24
	s_wait_alu 0xfffd
	v_add_co_ci_u32_e32 v11, vcc_lo, s1, v25, vcc_lo
	s_lshl_b64 s[0:1], s[4:5], 7
	s_delay_alu instid0(VALU_DEP_2) | instskip(SKIP_1) | instid1(VALU_DEP_2)
	v_add_co_u32 v10, vcc_lo, v10, v26
	s_wait_alu 0xfffd
	v_add_co_ci_u32_e32 v11, vcc_lo, v11, v27, vcc_lo
	s_wait_alu 0xfffe
	s_delay_alu instid0(VALU_DEP_2) | instskip(SKIP_1) | instid1(VALU_DEP_2)
	v_add_co_u32 v14, vcc_lo, v10, s0
	s_wait_alu 0xfffd
	v_add_co_ci_u32_e32 v15, vcc_lo, s1, v11, vcc_lo
	s_delay_alu instid0(VALU_DEP_2) | instskip(SKIP_1) | instid1(VALU_DEP_2)
	v_add_co_u32 v16, vcc_lo, v14, s0
	s_wait_alu 0xfffd
	v_add_co_ci_u32_e32 v17, vcc_lo, s1, v15, vcc_lo
	s_delay_alu instid0(VALU_DEP_2) | instskip(SKIP_1) | instid1(VALU_DEP_2)
	v_add_co_u32 v18, vcc_lo, v16, s0
	s_wait_alu 0xfffd
	v_add_co_ci_u32_e32 v19, vcc_lo, s1, v17, vcc_lo
	s_delay_alu instid0(VALU_DEP_2) | instskip(SKIP_1) | instid1(VALU_DEP_2)
	v_add_co_u32 v20, vcc_lo, v18, s0
	s_wait_alu 0xfffd
	v_add_co_ci_u32_e32 v21, vcc_lo, s1, v19, vcc_lo
	s_delay_alu instid0(VALU_DEP_2) | instskip(SKIP_1) | instid1(VALU_DEP_2)
	v_add_co_u32 v22, vcc_lo, v20, s0
	s_wait_alu 0xfffd
	v_add_co_ci_u32_e32 v23, vcc_lo, s1, v21, vcc_lo
	s_clause 0x4
	global_store_b64 v[10:11], v[0:1], off
	global_store_b64 v[14:15], v[2:3], off
	;; [unrolled: 1-line block ×6, first 2 shown]
.LBB0_10:
	s_nop 0
	s_sendmsg sendmsg(MSG_DEALLOC_VGPRS)
	s_endpgm
	.section	.rodata,"a",@progbits
	.p2align	6, 0x0
	.amdhsa_kernel bluestein_single_back_len96_dim1_sp_op_CI_CI
		.amdhsa_group_segment_fixed_size 6144
		.amdhsa_private_segment_fixed_size 0
		.amdhsa_kernarg_size 104
		.amdhsa_user_sgpr_count 2
		.amdhsa_user_sgpr_dispatch_ptr 0
		.amdhsa_user_sgpr_queue_ptr 0
		.amdhsa_user_sgpr_kernarg_segment_ptr 1
		.amdhsa_user_sgpr_dispatch_id 0
		.amdhsa_user_sgpr_private_segment_size 0
		.amdhsa_wavefront_size32 1
		.amdhsa_uses_dynamic_stack 0
		.amdhsa_enable_private_segment 0
		.amdhsa_system_sgpr_workgroup_id_x 1
		.amdhsa_system_sgpr_workgroup_id_y 0
		.amdhsa_system_sgpr_workgroup_id_z 0
		.amdhsa_system_sgpr_workgroup_info 0
		.amdhsa_system_vgpr_workitem_id 0
		.amdhsa_next_free_vgpr 113
		.amdhsa_next_free_sgpr 20
		.amdhsa_reserve_vcc 1
		.amdhsa_float_round_mode_32 0
		.amdhsa_float_round_mode_16_64 0
		.amdhsa_float_denorm_mode_32 3
		.amdhsa_float_denorm_mode_16_64 3
		.amdhsa_fp16_overflow 0
		.amdhsa_workgroup_processor_mode 1
		.amdhsa_memory_ordered 1
		.amdhsa_forward_progress 0
		.amdhsa_round_robin_scheduling 0
		.amdhsa_exception_fp_ieee_invalid_op 0
		.amdhsa_exception_fp_denorm_src 0
		.amdhsa_exception_fp_ieee_div_zero 0
		.amdhsa_exception_fp_ieee_overflow 0
		.amdhsa_exception_fp_ieee_underflow 0
		.amdhsa_exception_fp_ieee_inexact 0
		.amdhsa_exception_int_div_zero 0
	.end_amdhsa_kernel
	.text
.Lfunc_end0:
	.size	bluestein_single_back_len96_dim1_sp_op_CI_CI, .Lfunc_end0-bluestein_single_back_len96_dim1_sp_op_CI_CI
                                        ; -- End function
	.section	.AMDGPU.csdata,"",@progbits
; Kernel info:
; codeLenInByte = 5836
; NumSgprs: 22
; NumVgprs: 113
; ScratchSize: 0
; MemoryBound: 0
; FloatMode: 240
; IeeeMode: 1
; LDSByteSize: 6144 bytes/workgroup (compile time only)
; SGPRBlocks: 2
; VGPRBlocks: 14
; NumSGPRsForWavesPerEU: 22
; NumVGPRsForWavesPerEU: 113
; Occupancy: 12
; WaveLimiterHint : 1
; COMPUTE_PGM_RSRC2:SCRATCH_EN: 0
; COMPUTE_PGM_RSRC2:USER_SGPR: 2
; COMPUTE_PGM_RSRC2:TRAP_HANDLER: 0
; COMPUTE_PGM_RSRC2:TGID_X_EN: 1
; COMPUTE_PGM_RSRC2:TGID_Y_EN: 0
; COMPUTE_PGM_RSRC2:TGID_Z_EN: 0
; COMPUTE_PGM_RSRC2:TIDIG_COMP_CNT: 0
	.text
	.p2alignl 7, 3214868480
	.fill 96, 4, 3214868480
	.type	__hip_cuid_1adac5f5b0eabbdf,@object ; @__hip_cuid_1adac5f5b0eabbdf
	.section	.bss,"aw",@nobits
	.globl	__hip_cuid_1adac5f5b0eabbdf
__hip_cuid_1adac5f5b0eabbdf:
	.byte	0                               ; 0x0
	.size	__hip_cuid_1adac5f5b0eabbdf, 1

	.ident	"AMD clang version 19.0.0git (https://github.com/RadeonOpenCompute/llvm-project roc-6.4.0 25133 c7fe45cf4b819c5991fe208aaa96edf142730f1d)"
	.section	".note.GNU-stack","",@progbits
	.addrsig
	.addrsig_sym __hip_cuid_1adac5f5b0eabbdf
	.amdgpu_metadata
---
amdhsa.kernels:
  - .args:
      - .actual_access:  read_only
        .address_space:  global
        .offset:         0
        .size:           8
        .value_kind:     global_buffer
      - .actual_access:  read_only
        .address_space:  global
        .offset:         8
        .size:           8
        .value_kind:     global_buffer
      - .actual_access:  read_only
        .address_space:  global
        .offset:         16
        .size:           8
        .value_kind:     global_buffer
      - .actual_access:  read_only
        .address_space:  global
        .offset:         24
        .size:           8
        .value_kind:     global_buffer
      - .actual_access:  read_only
        .address_space:  global
        .offset:         32
        .size:           8
        .value_kind:     global_buffer
      - .offset:         40
        .size:           8
        .value_kind:     by_value
      - .address_space:  global
        .offset:         48
        .size:           8
        .value_kind:     global_buffer
      - .address_space:  global
        .offset:         56
        .size:           8
        .value_kind:     global_buffer
      - .address_space:  global
        .offset:         64
        .size:           8
        .value_kind:     global_buffer
      - .address_space:  global
        .offset:         72
        .size:           8
        .value_kind:     global_buffer
      - .offset:         80
        .size:           4
        .value_kind:     by_value
      - .address_space:  global
        .offset:         88
        .size:           8
        .value_kind:     global_buffer
      - .address_space:  global
        .offset:         96
        .size:           8
        .value_kind:     global_buffer
    .group_segment_fixed_size: 6144
    .kernarg_segment_align: 8
    .kernarg_segment_size: 104
    .language:       OpenCL C
    .language_version:
      - 2
      - 0
    .max_flat_workgroup_size: 128
    .name:           bluestein_single_back_len96_dim1_sp_op_CI_CI
    .private_segment_fixed_size: 0
    .sgpr_count:     22
    .sgpr_spill_count: 0
    .symbol:         bluestein_single_back_len96_dim1_sp_op_CI_CI.kd
    .uniform_work_group_size: 1
    .uses_dynamic_stack: false
    .vgpr_count:     113
    .vgpr_spill_count: 0
    .wavefront_size: 32
    .workgroup_processor_mode: 1
amdhsa.target:   amdgcn-amd-amdhsa--gfx1201
amdhsa.version:
  - 1
  - 2
...

	.end_amdgpu_metadata
